;; amdgpu-corpus repo=ROCm/rocFFT kind=compiled arch=gfx906 opt=O3
	.text
	.amdgcn_target "amdgcn-amd-amdhsa--gfx906"
	.amdhsa_code_object_version 6
	.protected	fft_rtc_back_len64_factors_8_8_wgs_64_tpt_8_dim1_sp_op_CI_CI_unitstride_sbrr_C2R_dirReg ; -- Begin function fft_rtc_back_len64_factors_8_8_wgs_64_tpt_8_dim1_sp_op_CI_CI_unitstride_sbrr_C2R_dirReg
	.globl	fft_rtc_back_len64_factors_8_8_wgs_64_tpt_8_dim1_sp_op_CI_CI_unitstride_sbrr_C2R_dirReg
	.p2align	8
	.type	fft_rtc_back_len64_factors_8_8_wgs_64_tpt_8_dim1_sp_op_CI_CI_unitstride_sbrr_C2R_dirReg,@function
fft_rtc_back_len64_factors_8_8_wgs_64_tpt_8_dim1_sp_op_CI_CI_unitstride_sbrr_C2R_dirReg: ; @fft_rtc_back_len64_factors_8_8_wgs_64_tpt_8_dim1_sp_op_CI_CI_unitstride_sbrr_C2R_dirReg
; %bb.0:
	s_load_dwordx4 s[8:11], s[4:5], 0x18
	v_lshrrev_b32_e32 v2, 3, v0
	v_lshl_or_b32 v3, s6, 3, v2
	v_mov_b32_e32 v4, 0
	v_and_b32_e32 v1, 7, v0
	s_waitcnt lgkmcnt(0)
	v_cmp_gt_u64_e32 vcc, s[10:11], v[3:4]
	v_cmp_le_u64_e64 s[0:1], s[10:11], v[3:4]
	s_and_saveexec_b64 s[2:3], s[0:1]
	s_xor_b64 s[0:1], exec, s[2:3]
; %bb.1:
	v_and_b32_e32 v1, 7, v0
; %bb.2:
	s_or_saveexec_b64 s[10:11], s[0:1]
	s_load_dwordx2 s[6:7], s[4:5], 0x0
	s_load_dwordx2 s[2:3], s[8:9], 0x8
	v_mul_u32_u24_e32 v0, 0x41, v2
	v_lshlrev_b32_e32 v9, 3, v0
	s_xor_b64 exec, exec, s[10:11]
	s_cbranch_execz .LBB0_6
; %bb.3:
	s_load_dwordx2 s[0:1], s[4:5], 0x10
	s_waitcnt lgkmcnt(0)
	s_load_dwordx2 s[0:1], s[0:1], 0x8
	s_waitcnt lgkmcnt(0)
	v_mad_u64_u32 v[4:5], s[8:9], s0, v3, 0
	s_load_dwordx2 s[8:9], s[4:5], 0x50
	v_mov_b32_e32 v2, v5
	v_mad_u64_u32 v[5:6], s[0:1], s1, v3, v[2:3]
	s_waitcnt lgkmcnt(0)
	v_mov_b32_e32 v6, s9
	v_lshlrev_b32_e32 v2, 3, v1
	v_lshlrev_b64 v[4:5], 3, v[4:5]
	v_add_co_u32_e64 v4, s[0:1], s8, v4
	v_addc_co_u32_e64 v5, s[0:1], v6, v5, s[0:1]
	v_add_co_u32_e64 v6, s[0:1], v4, v2
	v_addc_co_u32_e64 v7, s[0:1], 0, v5, s[0:1]
	global_load_dwordx2 v[10:11], v[6:7], off
	global_load_dwordx2 v[12:13], v[6:7], off offset:64
	v_add3_u32 v2, 0, v9, v2
	global_load_dwordx2 v[14:15], v[6:7], off offset:128
	global_load_dwordx2 v[16:17], v[6:7], off offset:192
	v_cmp_eq_u32_e64 s[0:1], 7, v1
	s_waitcnt vmcnt(2)
	ds_write2_b64 v2, v[10:11], v[12:13] offset1:8
	global_load_dwordx2 v[10:11], v[6:7], off offset:256
	global_load_dwordx2 v[12:13], v[6:7], off offset:320
	;; [unrolled: 1-line block ×4, first 2 shown]
	s_waitcnt vmcnt(4)
	ds_write2_b64 v2, v[14:15], v[16:17] offset0:16 offset1:24
	s_waitcnt vmcnt(2)
	ds_write2_b64 v2, v[10:11], v[12:13] offset0:32 offset1:40
	;; [unrolled: 2-line block ×3, first 2 shown]
	s_and_saveexec_b64 s[8:9], s[0:1]
	s_cbranch_execz .LBB0_5
; %bb.4:
	global_load_dwordx2 v[4:5], v[4:5], off offset:512
	v_mov_b32_e32 v1, 7
	s_waitcnt vmcnt(0)
	ds_write_b64 v2, v[4:5] offset:456
.LBB0_5:
	s_or_b64 exec, exec, s[8:9]
.LBB0_6:
	s_or_b64 exec, exec, s[10:11]
	v_lshl_add_u32 v0, v0, 3, 0
	v_lshlrev_b32_e32 v11, 3, v1
	v_add_u32_e32 v8, v0, v11
	s_waitcnt lgkmcnt(0)
	; wave barrier
	s_waitcnt lgkmcnt(0)
	v_sub_u32_e32 v10, v0, v11
	ds_read_b32 v2, v8
	ds_read_b32 v5, v10 offset:512
	v_cmp_ne_u32_e64 s[0:1], 0, v1
                                        ; implicit-def: $vgpr6_vgpr7
	s_waitcnt lgkmcnt(0)
	v_add_f32_e32 v4, v5, v2
	v_sub_f32_e32 v5, v2, v5
	s_and_saveexec_b64 s[8:9], s[0:1]
	s_xor_b64 s[8:9], exec, s[8:9]
	s_cbranch_execz .LBB0_8
; %bb.7:
	v_mov_b32_e32 v2, 0
	v_lshlrev_b64 v[6:7], 3, v[1:2]
	v_mov_b32_e32 v12, s7
	v_add_co_u32_e64 v6, s[0:1], s6, v6
	v_addc_co_u32_e64 v7, s[0:1], v12, v7, s[0:1]
	global_load_dwordx2 v[6:7], v[6:7], off offset:448
	ds_read_b32 v12, v10 offset:516
	ds_read_b32 v13, v8 offset:4
	s_waitcnt lgkmcnt(0)
	v_add_f32_e32 v16, v12, v13
	v_sub_f32_e32 v12, v13, v12
	s_waitcnt vmcnt(0)
	v_fma_f32 v17, v5, v7, v4
	v_fma_f32 v13, v16, v7, v12
	v_fma_f32 v14, -v5, v7, v4
	v_fma_f32 v15, v16, v7, -v12
	v_fma_f32 v12, -v6, v16, v17
	v_fmac_f32_e32 v13, v5, v6
	v_fmac_f32_e32 v14, v6, v16
	;; [unrolled: 1-line block ×3, first 2 shown]
	v_mov_b32_e32 v7, v2
	ds_write_b64 v8, v[12:13]
	ds_write_b64 v10, v[14:15] offset:512
	v_mov_b32_e32 v6, v1
                                        ; implicit-def: $vgpr4
.LBB0_8:
	s_andn2_saveexec_b64 s[0:1], s[8:9]
	s_cbranch_execz .LBB0_10
; %bb.9:
	ds_write_b64 v8, v[4:5]
	ds_read_b64 v[4:5], v0 offset:256
	v_mov_b32_e32 v6, 0
	v_mov_b32_e32 v7, 0
	s_waitcnt lgkmcnt(0)
	v_add_f32_e32 v4, v4, v4
	v_mul_f32_e32 v5, -2.0, v5
	ds_write_b64 v0, v[4:5] offset:256
.LBB0_10:
	s_or_b64 exec, exec, s[0:1]
	v_lshlrev_b64 v[4:5], 3, v[6:7]
	ds_read_b64 v[6:7], v8 offset:64
	ds_read_b64 v[12:13], v10 offset:448
	s_add_u32 s0, s6, 0x1c0
	s_addc_u32 s1, s7, 0
	v_mov_b32_e32 v2, s1
	v_add_co_u32_e64 v4, s[0:1], s0, v4
	v_addc_co_u32_e64 v5, s[0:1], v2, v5, s[0:1]
	s_waitcnt lgkmcnt(0)
	v_add_f32_e32 v2, v6, v12
	v_add_f32_e32 v16, v13, v7
	v_sub_f32_e32 v17, v6, v12
	v_sub_f32_e32 v14, v7, v13
	global_load_dwordx2 v[6:7], v[4:5], off offset:64
	s_waitcnt vmcnt(0)
	v_fma_f32 v18, v17, v7, v2
	v_fma_f32 v15, v16, v7, v14
	v_fma_f32 v12, -v17, v7, v2
	v_fma_f32 v13, v16, v7, -v14
	v_fma_f32 v14, -v6, v16, v18
	v_fmac_f32_e32 v15, v17, v6
	v_fmac_f32_e32 v12, v6, v16
	;; [unrolled: 1-line block ×3, first 2 shown]
	ds_write_b64 v8, v[14:15] offset:64
	ds_write_b64 v10, v[12:13] offset:448
	ds_read_b64 v[6:7], v8 offset:128
	ds_read_b64 v[12:13], v10 offset:384
	s_waitcnt lgkmcnt(0)
	v_add_f32_e32 v2, v6, v12
	v_add_f32_e32 v16, v13, v7
	v_sub_f32_e32 v17, v6, v12
	v_sub_f32_e32 v14, v7, v13
	global_load_dwordx2 v[6:7], v[4:5], off offset:128
	s_waitcnt vmcnt(0)
	v_fma_f32 v18, v17, v7, v2
	v_fma_f32 v15, v16, v7, v14
	v_fma_f32 v12, -v17, v7, v2
	v_fma_f32 v13, v16, v7, -v14
	v_fma_f32 v14, -v6, v16, v18
	v_fmac_f32_e32 v15, v17, v6
	v_fmac_f32_e32 v12, v6, v16
	;; [unrolled: 1-line block ×3, first 2 shown]
	ds_write_b64 v8, v[14:15] offset:128
	ds_write_b64 v10, v[12:13] offset:384
	ds_read_b64 v[6:7], v8 offset:192
	ds_read_b64 v[12:13], v10 offset:320
	global_load_dwordx2 v[4:5], v[4:5], off offset:192
	v_add3_u32 v17, 0, v11, v9
	s_waitcnt lgkmcnt(0)
	v_add_f32_e32 v2, v6, v12
	v_add_f32_e32 v14, v13, v7
	v_sub_f32_e32 v15, v6, v12
	v_sub_f32_e32 v12, v7, v13
	s_waitcnt vmcnt(0)
	v_fma_f32 v9, v15, v5, v2
	v_fma_f32 v6, -v15, v5, v2
	v_fma_f32 v7, v14, v5, -v12
	v_fma_f32 v12, v14, v5, v12
	v_fma_f32 v11, -v4, v14, v9
	v_fmac_f32_e32 v12, v15, v4
	v_fmac_f32_e32 v6, v4, v14
	;; [unrolled: 1-line block ×3, first 2 shown]
	ds_write_b64 v8, v[11:12] offset:192
	ds_write_b64 v10, v[6:7] offset:320
	s_waitcnt lgkmcnt(0)
	; wave barrier
	s_waitcnt lgkmcnt(0)
	s_waitcnt lgkmcnt(0)
	; wave barrier
	s_waitcnt lgkmcnt(0)
	ds_read2_b64 v[4:7], v17 offset0:8 offset1:16
	ds_read2_b64 v[9:12], v17 offset0:40 offset1:48
	s_waitcnt lgkmcnt(0)
	v_sub_f32_e32 v2, v6, v11
	v_sub_f32_e32 v11, v7, v12
	;; [unrolled: 1-line block ×4, first 2 shown]
	v_fma_f32 v14, v6, 2.0, -v2
	v_fma_f32 v15, v7, 2.0, -v11
	;; [unrolled: 1-line block ×4, first 2 shown]
	ds_read_b64 v[9:10], v17 offset:448
	ds_read2_b64 v[4:7], v17 offset0:24 offset1:32
	s_waitcnt lgkmcnt(0)
	v_sub_f32_e32 v19, v4, v9
	v_sub_f32_e32 v20, v5, v10
	ds_read_b64 v[9:10], v8
	v_fma_f32 v4, v4, 2.0, -v19
	v_fma_f32 v5, v5, 2.0, -v20
	v_sub_f32_e32 v23, v16, v4
	v_sub_f32_e32 v24, v18, v5
	s_waitcnt lgkmcnt(0)
	v_sub_f32_e32 v21, v9, v6
	v_sub_f32_e32 v22, v10, v7
	v_fma_f32 v4, v16, 2.0, -v23
	v_add_f32_e32 v16, v21, v11
	v_sub_f32_e32 v2, v22, v2
	v_fma_f32 v6, v9, 2.0, -v21
	v_fma_f32 v7, v10, 2.0, -v22
	v_fma_f32 v5, v18, 2.0, -v24
	v_add_f32_e32 v18, v12, v20
	v_sub_f32_e32 v19, v13, v19
	v_fma_f32 v11, v21, 2.0, -v16
	v_fma_f32 v20, v22, 2.0, -v2
	v_sub_f32_e32 v14, v6, v14
	v_sub_f32_e32 v15, v7, v15
	v_fma_f32 v12, v12, 2.0, -v18
	v_fma_f32 v13, v13, 2.0, -v19
	v_mov_b32_e32 v9, v11
	v_mov_b32_e32 v10, v20
	v_fma_f32 v6, v6, 2.0, -v14
	v_fma_f32 v7, v7, 2.0, -v15
	v_fmac_f32_e32 v9, 0xbf3504f3, v12
	v_fmac_f32_e32 v10, 0xbf3504f3, v13
	v_sub_f32_e32 v4, v6, v4
	v_sub_f32_e32 v5, v7, v5
	v_fmac_f32_e32 v9, 0x3f3504f3, v13
	v_fmac_f32_e32 v10, 0xbf3504f3, v12
	v_fma_f32 v6, v6, 2.0, -v4
	v_fma_f32 v7, v7, 2.0, -v5
	;; [unrolled: 1-line block ×4, first 2 shown]
	v_mad_u32_u24 v20, v1, 56, v17
	s_waitcnt lgkmcnt(0)
	; wave barrier
	ds_write2_b64 v20, v[6:7], v[11:12] offset1:1
	v_add_f32_e32 v6, v14, v24
	v_fma_f32 v11, v14, 2.0, -v6
	v_mov_b32_e32 v13, v16
	v_mov_b32_e32 v14, v2
	v_fmac_f32_e32 v13, 0x3f3504f3, v18
	v_fmac_f32_e32 v14, 0x3f3504f3, v19
	v_sub_f32_e32 v7, v15, v23
	v_fmac_f32_e32 v13, 0x3f3504f3, v19
	v_fmac_f32_e32 v14, 0xbf3504f3, v18
	v_fma_f32 v12, v15, 2.0, -v7
	v_fma_f32 v15, v16, 2.0, -v13
	;; [unrolled: 1-line block ×3, first 2 shown]
	v_mul_u32_u24_e32 v2, 7, v1
	v_lshlrev_b32_e32 v2, 3, v2
	ds_write2_b64 v20, v[11:12], v[15:16] offset0:2 offset1:3
	ds_write2_b64 v20, v[4:5], v[9:10] offset0:4 offset1:5
	ds_write2_b64 v20, v[6:7], v[13:14] offset0:6 offset1:7
	s_waitcnt lgkmcnt(0)
	; wave barrier
	s_waitcnt lgkmcnt(0)
	global_load_dwordx4 v[4:7], v2, s[6:7]
	ds_read2_b64 v[9:12], v17 offset0:8 offset1:16
	s_waitcnt vmcnt(0) lgkmcnt(0)
	v_mul_f32_e32 v13, v5, v10
	v_mul_f32_e32 v5, v5, v9
	v_fmac_f32_e32 v13, v4, v9
	v_fma_f32 v14, v4, v10, -v5
	v_mul_f32_e32 v15, v7, v12
	v_mul_f32_e32 v4, v7, v11
	v_fmac_f32_e32 v15, v6, v11
	v_fma_f32 v16, v6, v12, -v4
	global_load_dwordx4 v[4:7], v2, s[6:7] offset:16
	ds_read2_b64 v[9:12], v17 offset0:24 offset1:32
	s_waitcnt vmcnt(0) lgkmcnt(0)
	v_mul_f32_e32 v18, v5, v10
	v_mul_f32_e32 v5, v5, v9
	v_fmac_f32_e32 v18, v4, v9
	v_fma_f32 v19, v4, v10, -v5
	v_mul_f32_e32 v20, v7, v12
	v_mul_f32_e32 v4, v7, v11
	v_fmac_f32_e32 v20, v6, v11
	v_fma_f32 v11, v6, v12, -v4
	global_load_dwordx4 v[4:7], v2, s[6:7] offset:32
	ds_read_b64 v[9:10], v17 offset:320
	s_waitcnt vmcnt(0) lgkmcnt(0)
	v_mul_f32_e32 v12, v5, v10
	v_mul_f32_e32 v5, v5, v9
	v_fmac_f32_e32 v12, v4, v9
	v_fma_f32 v9, v4, v10, -v5
	ds_read2_b32 v[4:5], v17 offset0:96 offset1:97
	v_sub_f32_e32 v9, v14, v9
	v_fma_f32 v14, v14, 2.0, -v9
	v_sub_f32_e32 v12, v13, v12
	v_fma_f32 v13, v13, 2.0, -v12
	s_waitcnt lgkmcnt(0)
	v_mul_f32_e32 v10, v5, v7
	v_fmac_f32_e32 v10, v6, v4
	v_mul_f32_e32 v4, v7, v4
	v_fma_f32 v21, v5, v6, -v4
	global_load_dwordx2 v[4:5], v2, s[6:7] offset:48
	ds_read_b64 v[6:7], v17 offset:448
	v_sub_f32_e32 v10, v15, v10
	s_waitcnt vmcnt(0) lgkmcnt(0)
	v_mul_f32_e32 v2, v7, v5
	v_mul_f32_e32 v5, v6, v5
	v_fmac_f32_e32 v2, v6, v4
	v_fma_f32 v6, v7, v4, -v5
	ds_read_b64 v[4:5], v8
	v_sub_f32_e32 v2, v18, v2
	s_waitcnt lgkmcnt(0)
	; wave barrier
	s_waitcnt lgkmcnt(0)
	v_sub_f32_e32 v8, v4, v20
	v_sub_f32_e32 v11, v5, v11
	;; [unrolled: 1-line block ×4, first 2 shown]
	v_fma_f32 v5, v5, 2.0, -v11
	v_fma_f32 v7, v16, 2.0, -v20
	;; [unrolled: 1-line block ×3, first 2 shown]
	v_sub_f32_e32 v19, v5, v7
	v_sub_f32_e32 v16, v14, v16
	v_fma_f32 v4, v4, 2.0, -v8
	v_fma_f32 v6, v15, 2.0, -v10
	;; [unrolled: 1-line block ×5, first 2 shown]
	v_add_f32_e32 v14, v8, v20
	v_sub_f32_e32 v20, v11, v10
	v_sub_f32_e32 v18, v4, v6
	;; [unrolled: 1-line block ×3, first 2 shown]
	v_fma_f32 v10, v8, 2.0, -v14
	v_fma_f32 v11, v11, 2.0, -v20
	v_add_f32_e32 v21, v12, v21
	v_sub_f32_e32 v2, v9, v2
	v_fma_f32 v6, v4, 2.0, -v18
	v_fma_f32 v4, v13, 2.0, -v15
	;; [unrolled: 1-line block ×4, first 2 shown]
	v_mov_b32_e32 v8, v10
	v_mov_b32_e32 v9, v11
	v_fmac_f32_e32 v8, 0xbf3504f3, v12
	v_fmac_f32_e32 v9, 0xbf3504f3, v13
	v_sub_f32_e32 v4, v6, v4
	v_sub_f32_e32 v5, v7, v5
	v_fmac_f32_e32 v8, 0x3f3504f3, v13
	v_fmac_f32_e32 v9, 0xbf3504f3, v12
	v_mov_b32_e32 v12, v14
	v_mov_b32_e32 v13, v20
	v_fma_f32 v6, v6, 2.0, -v4
	v_fma_f32 v7, v7, 2.0, -v5
	;; [unrolled: 1-line block ×4, first 2 shown]
	v_fmac_f32_e32 v12, 0x3f3504f3, v21
	v_fmac_f32_e32 v13, 0x3f3504f3, v2
	ds_write2_b64 v17, v[6:7], v[10:11] offset1:8
	v_add_f32_e32 v6, v18, v16
	v_sub_f32_e32 v7, v19, v15
	v_fmac_f32_e32 v12, 0x3f3504f3, v2
	v_fmac_f32_e32 v13, 0xbf3504f3, v21
	v_fma_f32 v10, v18, 2.0, -v6
	v_fma_f32 v11, v19, 2.0, -v7
	;; [unrolled: 1-line block ×4, first 2 shown]
	ds_write2_b64 v17, v[10:11], v[14:15] offset0:16 offset1:24
	ds_write2_b64 v17, v[4:5], v[8:9] offset0:32 offset1:40
	;; [unrolled: 1-line block ×3, first 2 shown]
	s_waitcnt lgkmcnt(0)
	; wave barrier
	s_waitcnt lgkmcnt(0)
	s_and_saveexec_b64 s[0:1], vcc
	s_cbranch_execz .LBB0_12
; %bb.11:
	v_mad_u64_u32 v[7:8], s[0:1], s2, v3, 0
	s_load_dwordx2 s[0:1], s[4:5], 0x58
	v_lshl_add_u32 v0, v1, 3, v0
	v_mov_b32_e32 v2, v8
	v_mad_u64_u32 v[8:9], s[2:3], s3, v3, v[2:3]
	v_mov_b32_e32 v2, 0
	ds_read2_b64 v[3:6], v0 offset1:8
	v_lshlrev_b64 v[7:8], 3, v[7:8]
	s_waitcnt lgkmcnt(0)
	v_mov_b32_e32 v9, s1
	v_add_co_u32_e32 v10, vcc, s0, v7
	v_addc_co_u32_e32 v9, vcc, v9, v8, vcc
	v_lshlrev_b64 v[7:8], 3, v[1:2]
	v_add_co_u32_e32 v7, vcc, v10, v7
	v_addc_co_u32_e32 v8, vcc, v9, v8, vcc
	global_store_dwordx2 v[7:8], v[3:4], off
	v_add_u32_e32 v3, 8, v1
	v_mov_b32_e32 v4, v2
	v_lshlrev_b64 v[3:4], 3, v[3:4]
	v_add_u32_e32 v7, 16, v1
	v_add_co_u32_e32 v3, vcc, v10, v3
	v_addc_co_u32_e32 v4, vcc, v9, v4, vcc
	global_store_dwordx2 v[3:4], v[5:6], off
	v_mov_b32_e32 v8, v2
	ds_read2_b64 v[3:6], v0 offset0:16 offset1:24
	v_lshlrev_b64 v[7:8], 3, v[7:8]
	v_add_co_u32_e32 v7, vcc, v10, v7
	v_addc_co_u32_e32 v8, vcc, v9, v8, vcc
	s_waitcnt lgkmcnt(0)
	global_store_dwordx2 v[7:8], v[3:4], off
	v_add_u32_e32 v3, 24, v1
	v_mov_b32_e32 v4, v2
	v_lshlrev_b64 v[3:4], 3, v[3:4]
	v_add_u32_e32 v7, 32, v1
	v_add_co_u32_e32 v3, vcc, v10, v3
	v_addc_co_u32_e32 v4, vcc, v9, v4, vcc
	global_store_dwordx2 v[3:4], v[5:6], off
	v_mov_b32_e32 v8, v2
	ds_read2_b64 v[3:6], v0 offset0:32 offset1:40
	v_lshlrev_b64 v[7:8], 3, v[7:8]
	v_add_co_u32_e32 v7, vcc, v10, v7
	v_addc_co_u32_e32 v8, vcc, v9, v8, vcc
	s_waitcnt lgkmcnt(0)
	global_store_dwordx2 v[7:8], v[3:4], off
	v_add_u32_e32 v3, 40, v1
	v_mov_b32_e32 v4, v2
	v_lshlrev_b64 v[3:4], 3, v[3:4]
	v_add_u32_e32 v7, 48, v1
	v_add_co_u32_e32 v3, vcc, v10, v3
	v_mov_b32_e32 v8, v2
	v_addc_co_u32_e32 v4, vcc, v9, v4, vcc
	v_lshlrev_b64 v[7:8], 3, v[7:8]
	global_store_dwordx2 v[3:4], v[5:6], off
	ds_read2_b64 v[3:6], v0 offset0:48 offset1:56
	v_add_u32_e32 v1, 56, v1
	v_add_co_u32_e32 v7, vcc, v10, v7
	v_lshlrev_b64 v[0:1], 3, v[1:2]
	v_addc_co_u32_e32 v8, vcc, v9, v8, vcc
	v_add_co_u32_e32 v0, vcc, v10, v0
	v_addc_co_u32_e32 v1, vcc, v9, v1, vcc
	s_waitcnt lgkmcnt(0)
	global_store_dwordx2 v[7:8], v[3:4], off
	global_store_dwordx2 v[0:1], v[5:6], off
.LBB0_12:
	s_endpgm
	.section	.rodata,"a",@progbits
	.p2align	6, 0x0
	.amdhsa_kernel fft_rtc_back_len64_factors_8_8_wgs_64_tpt_8_dim1_sp_op_CI_CI_unitstride_sbrr_C2R_dirReg
		.amdhsa_group_segment_fixed_size 0
		.amdhsa_private_segment_fixed_size 0
		.amdhsa_kernarg_size 96
		.amdhsa_user_sgpr_count 6
		.amdhsa_user_sgpr_private_segment_buffer 1
		.amdhsa_user_sgpr_dispatch_ptr 0
		.amdhsa_user_sgpr_queue_ptr 0
		.amdhsa_user_sgpr_kernarg_segment_ptr 1
		.amdhsa_user_sgpr_dispatch_id 0
		.amdhsa_user_sgpr_flat_scratch_init 0
		.amdhsa_user_sgpr_private_segment_size 0
		.amdhsa_uses_dynamic_stack 0
		.amdhsa_system_sgpr_private_segment_wavefront_offset 0
		.amdhsa_system_sgpr_workgroup_id_x 1
		.amdhsa_system_sgpr_workgroup_id_y 0
		.amdhsa_system_sgpr_workgroup_id_z 0
		.amdhsa_system_sgpr_workgroup_info 0
		.amdhsa_system_vgpr_workitem_id 0
		.amdhsa_next_free_vgpr 25
		.amdhsa_next_free_sgpr 12
		.amdhsa_reserve_vcc 1
		.amdhsa_reserve_flat_scratch 0
		.amdhsa_float_round_mode_32 0
		.amdhsa_float_round_mode_16_64 0
		.amdhsa_float_denorm_mode_32 3
		.amdhsa_float_denorm_mode_16_64 3
		.amdhsa_dx10_clamp 1
		.amdhsa_ieee_mode 1
		.amdhsa_fp16_overflow 0
		.amdhsa_exception_fp_ieee_invalid_op 0
		.amdhsa_exception_fp_denorm_src 0
		.amdhsa_exception_fp_ieee_div_zero 0
		.amdhsa_exception_fp_ieee_overflow 0
		.amdhsa_exception_fp_ieee_underflow 0
		.amdhsa_exception_fp_ieee_inexact 0
		.amdhsa_exception_int_div_zero 0
	.end_amdhsa_kernel
	.text
.Lfunc_end0:
	.size	fft_rtc_back_len64_factors_8_8_wgs_64_tpt_8_dim1_sp_op_CI_CI_unitstride_sbrr_C2R_dirReg, .Lfunc_end0-fft_rtc_back_len64_factors_8_8_wgs_64_tpt_8_dim1_sp_op_CI_CI_unitstride_sbrr_C2R_dirReg
                                        ; -- End function
	.section	.AMDGPU.csdata,"",@progbits
; Kernel info:
; codeLenInByte = 2528
; NumSgprs: 16
; NumVgprs: 25
; ScratchSize: 0
; MemoryBound: 0
; FloatMode: 240
; IeeeMode: 1
; LDSByteSize: 0 bytes/workgroup (compile time only)
; SGPRBlocks: 1
; VGPRBlocks: 6
; NumSGPRsForWavesPerEU: 16
; NumVGPRsForWavesPerEU: 25
; Occupancy: 9
; WaveLimiterHint : 1
; COMPUTE_PGM_RSRC2:SCRATCH_EN: 0
; COMPUTE_PGM_RSRC2:USER_SGPR: 6
; COMPUTE_PGM_RSRC2:TRAP_HANDLER: 0
; COMPUTE_PGM_RSRC2:TGID_X_EN: 1
; COMPUTE_PGM_RSRC2:TGID_Y_EN: 0
; COMPUTE_PGM_RSRC2:TGID_Z_EN: 0
; COMPUTE_PGM_RSRC2:TIDIG_COMP_CNT: 0
	.type	__hip_cuid_b99ecaa78328f42a,@object ; @__hip_cuid_b99ecaa78328f42a
	.section	.bss,"aw",@nobits
	.globl	__hip_cuid_b99ecaa78328f42a
__hip_cuid_b99ecaa78328f42a:
	.byte	0                               ; 0x0
	.size	__hip_cuid_b99ecaa78328f42a, 1

	.ident	"AMD clang version 19.0.0git (https://github.com/RadeonOpenCompute/llvm-project roc-6.4.0 25133 c7fe45cf4b819c5991fe208aaa96edf142730f1d)"
	.section	".note.GNU-stack","",@progbits
	.addrsig
	.addrsig_sym __hip_cuid_b99ecaa78328f42a
	.amdgpu_metadata
---
amdhsa.kernels:
  - .args:
      - .actual_access:  read_only
        .address_space:  global
        .offset:         0
        .size:           8
        .value_kind:     global_buffer
      - .actual_access:  read_only
        .address_space:  global
        .offset:         8
        .size:           8
        .value_kind:     global_buffer
      - .actual_access:  read_only
        .address_space:  global
        .offset:         16
        .size:           8
        .value_kind:     global_buffer
      - .actual_access:  read_only
        .address_space:  global
        .offset:         24
        .size:           8
        .value_kind:     global_buffer
      - .offset:         32
        .size:           8
        .value_kind:     by_value
      - .actual_access:  read_only
        .address_space:  global
        .offset:         40
        .size:           8
        .value_kind:     global_buffer
      - .actual_access:  read_only
        .address_space:  global
        .offset:         48
        .size:           8
        .value_kind:     global_buffer
      - .offset:         56
        .size:           4
        .value_kind:     by_value
      - .actual_access:  read_only
        .address_space:  global
        .offset:         64
        .size:           8
        .value_kind:     global_buffer
      - .actual_access:  read_only
        .address_space:  global
        .offset:         72
        .size:           8
        .value_kind:     global_buffer
      - .actual_access:  read_only
        .address_space:  global
        .offset:         80
        .size:           8
        .value_kind:     global_buffer
      - .actual_access:  write_only
        .address_space:  global
        .offset:         88
        .size:           8
        .value_kind:     global_buffer
    .group_segment_fixed_size: 0
    .kernarg_segment_align: 8
    .kernarg_segment_size: 96
    .language:       OpenCL C
    .language_version:
      - 2
      - 0
    .max_flat_workgroup_size: 64
    .name:           fft_rtc_back_len64_factors_8_8_wgs_64_tpt_8_dim1_sp_op_CI_CI_unitstride_sbrr_C2R_dirReg
    .private_segment_fixed_size: 0
    .sgpr_count:     16
    .sgpr_spill_count: 0
    .symbol:         fft_rtc_back_len64_factors_8_8_wgs_64_tpt_8_dim1_sp_op_CI_CI_unitstride_sbrr_C2R_dirReg.kd
    .uniform_work_group_size: 1
    .uses_dynamic_stack: false
    .vgpr_count:     25
    .vgpr_spill_count: 0
    .wavefront_size: 64
amdhsa.target:   amdgcn-amd-amdhsa--gfx906
amdhsa.version:
  - 1
  - 2
...

	.end_amdgpu_metadata
